;; amdgpu-corpus repo=ROCm/rocFFT kind=compiled arch=gfx1201 opt=O3
	.text
	.amdgcn_target "amdgcn-amd-amdhsa--gfx1201"
	.amdhsa_code_object_version 6
	.protected	fft_rtc_back_len96_factors_4_2_3_4_wgs_128_tpt_8_halfLds_dim3_dp_ip_CI_sbcc_twdbase8_3step_dirReg_intrinsicReadWrite ; -- Begin function fft_rtc_back_len96_factors_4_2_3_4_wgs_128_tpt_8_halfLds_dim3_dp_ip_CI_sbcc_twdbase8_3step_dirReg_intrinsicReadWrite
	.globl	fft_rtc_back_len96_factors_4_2_3_4_wgs_128_tpt_8_halfLds_dim3_dp_ip_CI_sbcc_twdbase8_3step_dirReg_intrinsicReadWrite
	.p2align	8
	.type	fft_rtc_back_len96_factors_4_2_3_4_wgs_128_tpt_8_halfLds_dim3_dp_ip_CI_sbcc_twdbase8_3step_dirReg_intrinsicReadWrite,@function
fft_rtc_back_len96_factors_4_2_3_4_wgs_128_tpt_8_halfLds_dim3_dp_ip_CI_sbcc_twdbase8_3step_dirReg_intrinsicReadWrite: ; @fft_rtc_back_len96_factors_4_2_3_4_wgs_128_tpt_8_halfLds_dim3_dp_ip_CI_sbcc_twdbase8_3step_dirReg_intrinsicReadWrite
; %bb.0:
	s_load_b128 s[4:7], s[0:1], 0x10
	s_mov_b32 s10, ttmp9
	s_mov_b32 s11, 0
	s_mov_b64 s[16:17], 0
	s_wait_kmcnt 0x0
	s_load_b64 s[8:9], s[4:5], 0x8
	s_wait_kmcnt 0x0
	s_add_nc_u64 s[2:3], s[8:9], -1
	s_delay_alu instid0(SALU_CYCLE_1) | instskip(NEXT) | instid1(SALU_CYCLE_1)
	s_lshr_b64 s[2:3], s[2:3], 4
	s_add_nc_u64 s[12:13], s[2:3], 1
	s_delay_alu instid0(SALU_CYCLE_1) | instskip(NEXT) | instid1(VALU_DEP_1)
	v_cmp_lt_u64_e64 s2, s[10:11], s[12:13]
	s_and_b32 vcc_lo, exec_lo, s2
	s_cbranch_vccnz .LBB0_2
; %bb.1:
	v_cvt_f32_u32_e32 v1, s12
	s_sub_co_i32 s3, 0, s12
	s_mov_b32 s17, s11
	s_delay_alu instid0(VALU_DEP_1) | instskip(NEXT) | instid1(TRANS32_DEP_1)
	v_rcp_iflag_f32_e32 v1, v1
	v_mul_f32_e32 v1, 0x4f7ffffe, v1
	s_delay_alu instid0(VALU_DEP_1) | instskip(NEXT) | instid1(VALU_DEP_1)
	v_cvt_u32_f32_e32 v1, v1
	v_readfirstlane_b32 s2, v1
	s_delay_alu instid0(VALU_DEP_1) | instskip(NEXT) | instid1(SALU_CYCLE_1)
	s_mul_i32 s3, s3, s2
	s_mul_hi_u32 s3, s2, s3
	s_delay_alu instid0(SALU_CYCLE_1) | instskip(NEXT) | instid1(SALU_CYCLE_1)
	s_add_co_i32 s2, s2, s3
	s_mul_hi_u32 s2, s10, s2
	s_delay_alu instid0(SALU_CYCLE_1) | instskip(SKIP_2) | instid1(SALU_CYCLE_1)
	s_mul_i32 s3, s2, s12
	s_add_co_i32 s14, s2, 1
	s_sub_co_i32 s3, s10, s3
	s_sub_co_i32 s15, s3, s12
	s_cmp_ge_u32 s3, s12
	s_cselect_b32 s2, s14, s2
	s_cselect_b32 s3, s15, s3
	s_add_co_i32 s14, s2, 1
	s_cmp_ge_u32 s3, s12
	s_cselect_b32 s16, s14, s2
.LBB0_2:
	s_load_b64 s[22:23], s[4:5], 0x10
	s_load_b64 s[14:15], s[6:7], 0x8
	s_mov_b64 s[18:19], s[16:17]
	s_wait_kmcnt 0x0
	v_cmp_lt_u64_e64 s2, s[16:17], s[22:23]
	s_delay_alu instid0(VALU_DEP_1)
	s_and_b32 vcc_lo, exec_lo, s2
	s_cbranch_vccnz .LBB0_4
; %bb.3:
	v_cvt_f32_u32_e32 v1, s22
	s_sub_co_i32 s3, 0, s22
	s_mov_b32 s19, 0
	s_delay_alu instid0(VALU_DEP_1) | instskip(NEXT) | instid1(TRANS32_DEP_1)
	v_rcp_iflag_f32_e32 v1, v1
	v_mul_f32_e32 v1, 0x4f7ffffe, v1
	s_delay_alu instid0(VALU_DEP_1) | instskip(NEXT) | instid1(VALU_DEP_1)
	v_cvt_u32_f32_e32 v1, v1
	v_readfirstlane_b32 s2, v1
	s_delay_alu instid0(VALU_DEP_1) | instskip(NEXT) | instid1(SALU_CYCLE_1)
	s_mul_i32 s3, s3, s2
	s_mul_hi_u32 s3, s2, s3
	s_delay_alu instid0(SALU_CYCLE_1) | instskip(NEXT) | instid1(SALU_CYCLE_1)
	s_add_co_i32 s2, s2, s3
	s_mul_hi_u32 s2, s16, s2
	s_delay_alu instid0(SALU_CYCLE_1) | instskip(NEXT) | instid1(SALU_CYCLE_1)
	s_mul_i32 s2, s2, s22
	s_sub_co_i32 s2, s16, s2
	s_delay_alu instid0(SALU_CYCLE_1) | instskip(SKIP_2) | instid1(SALU_CYCLE_1)
	s_sub_co_i32 s3, s2, s22
	s_cmp_ge_u32 s2, s22
	s_cselect_b32 s2, s3, s2
	s_sub_co_i32 s3, s2, s22
	s_cmp_ge_u32 s2, s22
	s_cselect_b32 s18, s3, s2
.LBB0_4:
	s_load_b64 s[2:3], s[0:1], 0x50
	s_clause 0x1
	s_load_b64 s[4:5], s[6:7], 0x0
	s_load_b64 s[20:21], s[6:7], 0x10
	s_mul_u64 s[24:25], s[22:23], s[12:13]
	s_mov_b64 s[22:23], 0
	s_wait_kmcnt 0x0
	v_cmp_lt_u64_e64 s5, s[10:11], s[24:25]
	s_delay_alu instid0(VALU_DEP_1)
	s_and_b32 vcc_lo, exec_lo, s5
	s_cbranch_vccnz .LBB0_6
; %bb.5:
	v_cvt_f32_u32_e32 v1, s24
	s_sub_co_i32 s22, 0, s24
	s_delay_alu instid0(VALU_DEP_1) | instskip(NEXT) | instid1(TRANS32_DEP_1)
	v_rcp_iflag_f32_e32 v1, v1
	v_mul_f32_e32 v1, 0x4f7ffffe, v1
	s_delay_alu instid0(VALU_DEP_1) | instskip(NEXT) | instid1(VALU_DEP_1)
	v_cvt_u32_f32_e32 v1, v1
	v_readfirstlane_b32 s5, v1
	s_wait_alu 0xfffe
	s_delay_alu instid0(VALU_DEP_1) | instskip(SKIP_4) | instid1(SALU_CYCLE_1)
	s_mul_i32 s22, s22, s5
	s_wait_alu 0xfffe
	s_mul_hi_u32 s22, s5, s22
	s_wait_alu 0xfffe
	s_add_co_i32 s5, s5, s22
	s_mul_hi_u32 s5, s10, s5
	s_delay_alu instid0(SALU_CYCLE_1)
	s_mul_i32 s22, s5, s24
	s_add_co_i32 s23, s5, 1
	s_wait_alu 0xfffe
	s_sub_co_i32 s22, s10, s22
	s_wait_alu 0xfffe
	s_sub_co_i32 s25, s22, s24
	s_cmp_ge_u32 s22, s24
	s_cselect_b32 s5, s23, s5
	s_wait_alu 0xfffe
	s_cselect_b32 s22, s25, s22
	s_add_co_i32 s25, s5, 1
	s_wait_alu 0xfffe
	s_cmp_ge_u32 s22, s24
	s_mov_b32 s23, 0
	s_cselect_b32 s22, s25, s5
.LBB0_6:
	v_dual_mov_b32 v3, 0 :: v_dual_and_b32 v52, 15, v0
	s_load_b64 s[6:7], s[6:7], 0x18
	s_mul_u64 s[12:13], s[16:17], s[12:13]
	s_mul_u64 s[16:17], s[20:21], s[18:19]
	s_delay_alu instid0(VALU_DEP_1)
	v_mad_co_u64_u32 v[57:58], null, s14, v52, 0
	s_wait_alu 0xfffe
	s_sub_nc_u64 s[10:11], s[10:11], s[12:13]
	v_mov_b32_e32 v4, 0
	s_wait_alu 0xfffe
	s_lshl_b64 s[10:11], s[10:11], 4
	v_lshrrev_b32_e32 v49, 4, v0
	s_wait_alu 0xfffe
	v_or_b32_e32 v59, s10, v52
	s_mul_u64 s[12:13], s[14:15], s[10:11]
	v_dual_mov_b32 v1, v58 :: v_dual_mov_b32 v60, s11
	s_add_nc_u64 s[10:11], s[10:11], 16
	v_mov_b32_e32 v8, v4
	s_wait_alu 0xfffe
	v_cmp_le_u64_e64 s5, s[10:11], s[8:9]
	v_mov_b32_e32 v7, v3
	v_cmp_gt_u64_e32 vcc_lo, s[8:9], v[59:60]
	v_dual_mov_b32 v6, v4 :: v_dual_mov_b32 v5, v3
	s_add_nc_u64 s[12:13], s[16:17], s[12:13]
	s_wait_kmcnt 0x0
	s_mul_u64 s[6:7], s[6:7], s[22:23]
	v_mad_co_u64_u32 v[1:2], null, s15, v52, v[1:2]
	s_wait_alu 0xfffe
	s_add_nc_u64 s[6:7], s[6:7], s[12:13]
	s_or_b32 s5, s5, vcc_lo
	s_delay_alu instid0(SALU_CYCLE_1)
	s_and_saveexec_b32 s7, s5
	s_cbranch_execz .LBB0_8
; %bb.7:
	v_mul_lo_u32 v1, s4, v49
	v_mov_b32_e32 v2, 0
	s_delay_alu instid0(VALU_DEP_2) | instskip(NEXT) | instid1(VALU_DEP_1)
	v_add3_u32 v1, s6, v57, v1
	v_lshlrev_b64_e32 v[1:2], 4, v[1:2]
	s_delay_alu instid0(VALU_DEP_1) | instskip(NEXT) | instid1(VALU_DEP_2)
	v_add_co_u32 v1, vcc_lo, s2, v1
	v_add_co_ci_u32_e32 v2, vcc_lo, s3, v2, vcc_lo
	global_load_b128 v[5:8], v[1:2], off
.LBB0_8:
	s_or_b32 exec_lo, exec_lo, s7
	v_dual_mov_b32 v1, v3 :: v_dual_add_nc_u32 v50, 24, v49
	v_mov_b32_e32 v2, v4
	s_and_saveexec_b32 s7, s5
	s_cbranch_execz .LBB0_10
; %bb.9:
	s_delay_alu instid0(VALU_DEP_2) | instskip(SKIP_1) | instid1(VALU_DEP_2)
	v_mul_lo_u32 v1, s4, v50
	v_mov_b32_e32 v2, 0
	v_add3_u32 v1, s6, v57, v1
	s_delay_alu instid0(VALU_DEP_1) | instskip(NEXT) | instid1(VALU_DEP_1)
	v_lshlrev_b64_e32 v[1:2], 4, v[1:2]
	v_add_co_u32 v1, vcc_lo, s2, v1
	s_wait_alu 0xfffd
	s_delay_alu instid0(VALU_DEP_2)
	v_add_co_ci_u32_e32 v2, vcc_lo, s3, v2, vcc_lo
	global_load_b128 v[1:4], v[1:2], off
.LBB0_10:
	s_wait_alu 0xfffe
	s_or_b32 exec_lo, exec_lo, s7
	v_mov_b32_e32 v11, 0
	v_mov_b32_e32 v12, 0
	s_delay_alu instid0(VALU_DEP_1)
	v_dual_mov_b32 v16, v12 :: v_dual_mov_b32 v15, v11
	v_dual_mov_b32 v14, v12 :: v_dual_mov_b32 v13, v11
	s_and_saveexec_b32 s7, s5
	s_cbranch_execz .LBB0_12
; %bb.11:
	v_dual_mov_b32 v10, 0 :: v_dual_add_nc_u32 v9, 48, v49
	s_delay_alu instid0(VALU_DEP_1) | instskip(NEXT) | instid1(VALU_DEP_1)
	v_mul_lo_u32 v9, s4, v9
	v_add3_u32 v9, s6, v57, v9
	s_delay_alu instid0(VALU_DEP_1) | instskip(NEXT) | instid1(VALU_DEP_1)
	v_lshlrev_b64_e32 v[9:10], 4, v[9:10]
	v_add_co_u32 v9, vcc_lo, s2, v9
	s_wait_alu 0xfffd
	s_delay_alu instid0(VALU_DEP_2)
	v_add_co_ci_u32_e32 v10, vcc_lo, s3, v10, vcc_lo
	global_load_b128 v[13:16], v[9:10], off
.LBB0_12:
	s_wait_alu 0xfffe
	s_or_b32 exec_lo, exec_lo, s7
	v_dual_mov_b32 v9, v11 :: v_dual_mov_b32 v10, v12
	s_and_saveexec_b32 s7, s5
	s_cbranch_execz .LBB0_14
; %bb.13:
	v_dual_mov_b32 v10, 0 :: v_dual_add_nc_u32 v9, 0x48, v49
	s_delay_alu instid0(VALU_DEP_1) | instskip(NEXT) | instid1(VALU_DEP_1)
	v_mul_lo_u32 v9, s4, v9
	v_add3_u32 v9, s6, v57, v9
	s_delay_alu instid0(VALU_DEP_1) | instskip(NEXT) | instid1(VALU_DEP_1)
	v_lshlrev_b64_e32 v[9:10], 4, v[9:10]
	v_add_co_u32 v9, vcc_lo, s2, v9
	s_wait_alu 0xfffd
	s_delay_alu instid0(VALU_DEP_2)
	v_add_co_ci_u32_e32 v10, vcc_lo, s3, v10, vcc_lo
	global_load_b128 v[9:12], v[9:10], off
.LBB0_14:
	s_wait_alu 0xfffe
	s_or_b32 exec_lo, exec_lo, s7
	v_dual_mov_b32 v19, 0 :: v_dual_add_nc_u32 v58, 8, v49
	v_mov_b32_e32 v20, 0
	s_delay_alu instid0(VALU_DEP_1)
	v_dual_mov_b32 v24, v20 :: v_dual_mov_b32 v23, v19
	v_dual_mov_b32 v22, v20 :: v_dual_mov_b32 v21, v19
	s_and_saveexec_b32 s7, s5
	s_cbranch_execz .LBB0_16
; %bb.15:
	v_mul_lo_u32 v17, s4, v58
	v_mov_b32_e32 v18, 0
	s_delay_alu instid0(VALU_DEP_2) | instskip(NEXT) | instid1(VALU_DEP_1)
	v_add3_u32 v17, s6, v57, v17
	v_lshlrev_b64_e32 v[17:18], 4, v[17:18]
	s_delay_alu instid0(VALU_DEP_1) | instskip(SKIP_1) | instid1(VALU_DEP_2)
	v_add_co_u32 v17, vcc_lo, s2, v17
	s_wait_alu 0xfffd
	v_add_co_ci_u32_e32 v18, vcc_lo, s3, v18, vcc_lo
	global_load_b128 v[21:24], v[17:18], off
.LBB0_16:
	s_wait_alu 0xfffe
	s_or_b32 exec_lo, exec_lo, s7
	v_mov_b32_e32 v17, v19
	v_dual_mov_b32 v18, v20 :: v_dual_add_nc_u32 v51, 32, v49
	s_and_saveexec_b32 s7, s5
	s_cbranch_execz .LBB0_18
; %bb.17:
	s_delay_alu instid0(VALU_DEP_1) | instskip(SKIP_1) | instid1(VALU_DEP_2)
	v_mul_lo_u32 v17, s4, v51
	v_mov_b32_e32 v18, 0
	v_add3_u32 v17, s6, v57, v17
	s_delay_alu instid0(VALU_DEP_1) | instskip(NEXT) | instid1(VALU_DEP_1)
	v_lshlrev_b64_e32 v[17:18], 4, v[17:18]
	v_add_co_u32 v17, vcc_lo, s2, v17
	s_wait_alu 0xfffd
	s_delay_alu instid0(VALU_DEP_2)
	v_add_co_ci_u32_e32 v18, vcc_lo, s3, v18, vcc_lo
	global_load_b128 v[17:20], v[17:18], off
.LBB0_18:
	s_wait_alu 0xfffe
	s_or_b32 exec_lo, exec_lo, s7
	v_mov_b32_e32 v27, 0
	v_mov_b32_e32 v28, 0
	s_delay_alu instid0(VALU_DEP_1)
	v_dual_mov_b32 v32, v28 :: v_dual_mov_b32 v31, v27
	v_dual_mov_b32 v30, v28 :: v_dual_mov_b32 v29, v27
	s_and_saveexec_b32 s7, s5
	s_cbranch_execz .LBB0_20
; %bb.19:
	v_dual_mov_b32 v26, 0 :: v_dual_add_nc_u32 v25, 56, v49
	s_delay_alu instid0(VALU_DEP_1) | instskip(NEXT) | instid1(VALU_DEP_1)
	v_mul_lo_u32 v25, s4, v25
	v_add3_u32 v25, s6, v57, v25
	s_delay_alu instid0(VALU_DEP_1) | instskip(NEXT) | instid1(VALU_DEP_1)
	v_lshlrev_b64_e32 v[25:26], 4, v[25:26]
	v_add_co_u32 v25, vcc_lo, s2, v25
	s_wait_alu 0xfffd
	s_delay_alu instid0(VALU_DEP_2)
	v_add_co_ci_u32_e32 v26, vcc_lo, s3, v26, vcc_lo
	global_load_b128 v[29:32], v[25:26], off
.LBB0_20:
	s_wait_alu 0xfffe
	s_or_b32 exec_lo, exec_lo, s7
	v_dual_mov_b32 v25, v27 :: v_dual_mov_b32 v26, v28
	s_and_saveexec_b32 s7, s5
	s_cbranch_execz .LBB0_22
; %bb.21:
	v_dual_mov_b32 v26, 0 :: v_dual_add_nc_u32 v25, 0x50, v49
	s_delay_alu instid0(VALU_DEP_1) | instskip(NEXT) | instid1(VALU_DEP_1)
	v_mul_lo_u32 v25, s4, v25
	v_add3_u32 v25, s6, v57, v25
	s_delay_alu instid0(VALU_DEP_1) | instskip(NEXT) | instid1(VALU_DEP_1)
	v_lshlrev_b64_e32 v[25:26], 4, v[25:26]
	v_add_co_u32 v25, vcc_lo, s2, v25
	s_wait_alu 0xfffd
	s_delay_alu instid0(VALU_DEP_2)
	v_add_co_ci_u32_e32 v26, vcc_lo, s3, v26, vcc_lo
	global_load_b128 v[25:28], v[25:26], off
.LBB0_22:
	s_wait_alu 0xfffe
	s_or_b32 exec_lo, exec_lo, s7
	v_dual_mov_b32 v35, 0 :: v_dual_add_nc_u32 v68, 16, v49
	v_mov_b32_e32 v36, 0
	s_delay_alu instid0(VALU_DEP_1)
	v_dual_mov_b32 v40, v36 :: v_dual_mov_b32 v39, v35
	v_dual_mov_b32 v38, v36 :: v_dual_mov_b32 v37, v35
	s_and_saveexec_b32 s7, s5
	s_cbranch_execz .LBB0_24
; %bb.23:
	v_mul_lo_u32 v33, s4, v68
	v_mov_b32_e32 v34, 0
	s_delay_alu instid0(VALU_DEP_2) | instskip(NEXT) | instid1(VALU_DEP_1)
	v_add3_u32 v33, s6, v57, v33
	v_lshlrev_b64_e32 v[33:34], 4, v[33:34]
	s_delay_alu instid0(VALU_DEP_1) | instskip(SKIP_1) | instid1(VALU_DEP_2)
	v_add_co_u32 v33, vcc_lo, s2, v33
	s_wait_alu 0xfffd
	v_add_co_ci_u32_e32 v34, vcc_lo, s3, v34, vcc_lo
	global_load_b128 v[37:40], v[33:34], off
.LBB0_24:
	s_wait_alu 0xfffe
	s_or_b32 exec_lo, exec_lo, s7
	v_mov_b32_e32 v33, v35
	v_dual_mov_b32 v34, v36 :: v_dual_add_nc_u32 v53, 40, v49
	s_and_saveexec_b32 s7, s5
	s_cbranch_execz .LBB0_26
; %bb.25:
	s_delay_alu instid0(VALU_DEP_1) | instskip(SKIP_1) | instid1(VALU_DEP_2)
	v_mul_lo_u32 v33, s4, v53
	v_mov_b32_e32 v34, 0
	v_add3_u32 v33, s6, v57, v33
	s_delay_alu instid0(VALU_DEP_1) | instskip(NEXT) | instid1(VALU_DEP_1)
	v_lshlrev_b64_e32 v[33:34], 4, v[33:34]
	v_add_co_u32 v33, vcc_lo, s2, v33
	s_wait_alu 0xfffd
	s_delay_alu instid0(VALU_DEP_2)
	v_add_co_ci_u32_e32 v34, vcc_lo, s3, v34, vcc_lo
	global_load_b128 v[33:36], v[33:34], off
.LBB0_26:
	s_wait_alu 0xfffe
	s_or_b32 exec_lo, exec_lo, s7
	s_load_b64 s[8:9], s[0:1], 0x0
	v_mov_b32_e32 v43, 0
	v_mov_b32_e32 v44, 0
	s_delay_alu instid0(VALU_DEP_1)
	v_dual_mov_b32 v48, v44 :: v_dual_mov_b32 v47, v43
	v_dual_mov_b32 v46, v44 :: v_dual_mov_b32 v45, v43
	s_and_saveexec_b32 s7, s5
	s_cbranch_execz .LBB0_28
; %bb.27:
	v_or_b32_e32 v41, 64, v49
	v_mov_b32_e32 v42, 0
	s_delay_alu instid0(VALU_DEP_2) | instskip(NEXT) | instid1(VALU_DEP_1)
	v_mul_lo_u32 v41, s4, v41
	v_add3_u32 v41, s6, v57, v41
	s_delay_alu instid0(VALU_DEP_1) | instskip(NEXT) | instid1(VALU_DEP_1)
	v_lshlrev_b64_e32 v[41:42], 4, v[41:42]
	v_add_co_u32 v41, vcc_lo, s2, v41
	s_wait_alu 0xfffd
	s_delay_alu instid0(VALU_DEP_2)
	v_add_co_ci_u32_e32 v42, vcc_lo, s3, v42, vcc_lo
	global_load_b128 v[45:48], v[41:42], off
.LBB0_28:
	s_wait_alu 0xfffe
	s_or_b32 exec_lo, exec_lo, s7
	v_dual_mov_b32 v41, v43 :: v_dual_mov_b32 v42, v44
	s_and_saveexec_b32 s7, s5
	s_cbranch_execz .LBB0_30
; %bb.29:
	v_dual_mov_b32 v42, 0 :: v_dual_add_nc_u32 v41, 0x58, v49
	s_delay_alu instid0(VALU_DEP_1) | instskip(NEXT) | instid1(VALU_DEP_1)
	v_mul_lo_u32 v41, s4, v41
	v_add3_u32 v41, s6, v57, v41
	s_delay_alu instid0(VALU_DEP_1) | instskip(NEXT) | instid1(VALU_DEP_1)
	v_lshlrev_b64_e32 v[41:42], 4, v[41:42]
	v_add_co_u32 v41, vcc_lo, s2, v41
	s_wait_alu 0xfffd
	s_delay_alu instid0(VALU_DEP_2)
	v_add_co_ci_u32_e32 v42, vcc_lo, s3, v42, vcc_lo
	global_load_b128 v[41:44], v[41:42], off
.LBB0_30:
	s_wait_alu 0xfffe
	s_or_b32 exec_lo, exec_lo, s7
	s_wait_loadcnt 0x0
	v_add_f64_e64 v[45:46], v[37:38], -v[45:46]
	v_add_f64_e64 v[41:42], v[33:34], -v[41:42]
	;; [unrolled: 1-line block ×12, first 2 shown]
	v_lshlrev_b32_e32 v56, 9, v68
	v_bfe_u32 v85, v0, 4, 2
	v_lshlrev_b32_e32 v64, 7, v50
	v_lshlrev_b32_e32 v65, 7, v51
	;; [unrolled: 1-line block ×3, first 2 shown]
	v_bfe_u32 v93, v0, 4, 3
	v_lshlrev_b32_e32 v74, 4, v85
	s_mov_b32 s10, 0xe8584caa
	s_mov_b32 s11, 0xbfebb67a
	;; [unrolled: 1-line block ×3, first 2 shown]
	s_wait_alu 0xfffe
	s_mov_b32 s12, s10
	v_fma_f64 v[37:38], v[37:38], 2.0, -v[45:46]
	v_fma_f64 v[33:34], v[33:34], 2.0, -v[41:42]
	;; [unrolled: 1-line block ×12, first 2 shown]
	v_add_f64_e32 v[27:28], v[29:30], v[27:28]
	v_add_f64_e64 v[60:61], v[15:16], -v[9:10]
	v_add_f64_e64 v[25:26], v[31:32], -v[25:26]
	v_add_f64_e32 v[11:12], v[13:14], v[11:12]
	v_add_f64_e32 v[43:44], v[45:46], v[43:44]
	v_add_f64_e64 v[41:42], v[47:48], -v[41:42]
	v_add_f64_e64 v[33:34], v[37:38], -v[33:34]
	;; [unrolled: 1-line block ×5, first 2 shown]
	v_lshlrev_b32_e32 v1, 3, v52
	v_add_f64_e64 v[17:18], v[21:22], -v[17:18]
	v_lshlrev_b32_e32 v52, 9, v58
	v_add_f64_e64 v[35:36], v[39:40], -v[35:36]
	v_fma_f64 v[9:10], v[29:30], 2.0, -v[27:28]
	v_fma_f64 v[15:16], v[15:16], 2.0, -v[60:61]
	;; [unrolled: 1-line block ×6, first 2 shown]
	v_add3_u32 v52, 0, v52, v1
	v_add3_u32 v56, 0, v56, v1
	;; [unrolled: 1-line block ×5, first 2 shown]
	v_mad_i32_i24 v72, 0xfffffe80, v58, v52
	v_mad_i32_i24 v71, 0xfffffe80, v68, v56
	v_fma_f64 v[29:30], v[37:38], 2.0, -v[33:34]
	v_fma_f64 v[37:38], v[7:8], 2.0, -v[62:63]
	;; [unrolled: 1-line block ×4, first 2 shown]
	v_lshlrev_b32_e32 v6, 9, v49
	v_fma_f64 v[21:22], v[21:22], 2.0, -v[17:18]
	v_fma_f64 v[39:40], v[39:40], 2.0, -v[35:36]
	s_delay_alu instid0(VALU_DEP_3)
	v_add3_u32 v73, 0, v6, v1
	ds_store_2addr_b64 v73, v[54:55], v[11:12] offset0:32 offset1:48
	ds_store_2addr_b64 v52, v[17:18], v[27:28] offset0:32 offset1:48
	ds_store_2addr_b64 v56, v[33:34], v[43:44] offset0:32 offset1:48
	ds_store_2addr_b64 v73, v[4:5], v[2:3] offset1:16
	ds_store_2addr_b64 v52, v[21:22], v[9:10] offset1:16
	;; [unrolled: 1-line block ×3, first 2 shown]
	v_mad_i32_i24 v69, 0xfffffe80, v49, v73
	global_wb scope:SCOPE_SE
	s_wait_dscnt 0x0
	s_wait_kmcnt 0x0
	s_barrier_signal -1
	s_barrier_wait -1
	global_inv scope:SCOPE_SE
	ds_load_2addr_stride64_b64 v[2:5], v69 offset1:12
	ds_load_2addr_stride64_b64 v[6:9], v69 offset0:14 offset1:16
	ds_load_b64 v[33:34], v70
	ds_load_2addr_stride64_b64 v[10:13], v69 offset0:18 offset1:20
	ds_load_b64 v[43:44], v86
	ds_load_b64 v[47:48], v87
	;; [unrolled: 1-line block ×4, first 2 shown]
	ds_load_b64 v[66:67], v69 offset:11264
	global_wb scope:SCOPE_SE
	s_wait_dscnt 0x0
	s_barrier_signal -1
	s_barrier_wait -1
	global_inv scope:SCOPE_SE
	ds_store_2addr_b64 v73, v[37:38], v[15:16] offset1:16
	ds_store_2addr_b64 v73, v[62:63], v[60:61] offset0:32 offset1:48
	ds_store_2addr_b64 v52, v[23:24], v[31:32] offset1:16
	ds_store_2addr_b64 v52, v[19:20], v[25:26] offset0:32 offset1:48
	;; [unrolled: 2-line block ×3, first 2 shown]
	global_wb scope:SCOPE_SE
	s_wait_dscnt 0x0
	s_barrier_signal -1
	s_barrier_wait -1
	global_inv scope:SCOPE_SE
	global_load_b128 v[14:17], v74, s[8:9]
	ds_load_2addr_stride64_b64 v[18:21], v69 offset1:12
	ds_load_2addr_stride64_b64 v[22:25], v69 offset0:14 offset1:16
	ds_load_2addr_stride64_b64 v[26:29], v69 offset0:18 offset1:20
	ds_load_b64 v[30:31], v69 offset:11264
	ds_load_b64 v[35:36], v70
	ds_load_b64 v[37:38], v72
	v_lshlrev_b32_e32 v52, 1, v49
	v_lshlrev_b32_e32 v56, 1, v58
	s_delay_alu instid0(VALU_DEP_2)
	v_and_or_b32 v52, 0x78, v52, v85
	s_wait_loadcnt_dscnt 0x5
	v_mul_f64_e32 v[39:40], v[20:21], v[16:17]
	s_wait_dscnt 0x2
	v_mul_f64_e32 v[73:74], v[30:31], v[16:17]
	v_mul_f64_e32 v[60:61], v[26:27], v[16:17]
	;; [unrolled: 1-line block ×11, first 2 shown]
	v_fma_f64 v[4:5], v[4:5], v[14:15], v[39:40]
	v_fma_f64 v[39:40], v[66:67], v[14:15], v[73:74]
	;; [unrolled: 1-line block ×3, first 2 shown]
	v_fma_f64 v[20:21], v[20:21], v[14:15], -v[75:76]
	v_fma_f64 v[6:7], v[6:7], v[14:15], v[41:42]
	v_fma_f64 v[22:23], v[22:23], v[14:15], -v[77:78]
	v_fma_f64 v[8:9], v[8:9], v[14:15], v[45:46]
	v_fma_f64 v[24:25], v[24:25], v[14:15], -v[79:80]
	v_fma_f64 v[26:27], v[26:27], v[14:15], -v[81:82]
	v_fma_f64 v[12:13], v[12:13], v[14:15], v[62:63]
	v_fma_f64 v[28:29], v[28:29], v[14:15], -v[83:84]
	v_fma_f64 v[14:15], v[30:31], v[14:15], -v[16:17]
	ds_load_b64 v[16:17], v71
	v_lshlrev_b32_e32 v62, 7, v52
	v_lshlrev_b32_e32 v60, 1, v68
	;; [unrolled: 1-line block ×3, first 2 shown]
	v_lshrrev_b32_e32 v50, 3, v50
	v_add_f64_e64 v[4:5], v[2:3], -v[4:5]
	v_add_f64_e64 v[30:31], v[47:48], -v[39:40]
	ds_load_b64 v[39:40], v86
	ds_load_b64 v[41:42], v87
	v_add_f64_e64 v[10:11], v[33:34], -v[10:11]
	v_add_f64_e64 v[20:21], v[18:19], -v[20:21]
	;; [unrolled: 1-line block ×3, first 2 shown]
	s_wait_dscnt 0x3
	v_add_f64_e64 v[22:23], v[37:38], -v[22:23]
	v_add_f64_e64 v[8:9], v[54:55], -v[8:9]
	s_wait_dscnt 0x2
	v_add_f64_e64 v[24:25], v[16:17], -v[24:25]
	v_add_f64_e64 v[26:27], v[35:36], -v[26:27]
	v_add_f64_e64 v[12:13], v[43:44], -v[12:13]
	global_wb scope:SCOPE_SE
	s_wait_dscnt 0x0
	s_barrier_signal -1
	s_barrier_wait -1
	global_inv scope:SCOPE_SE
	v_add_f64_e64 v[28:29], v[39:40], -v[28:29]
	v_add_f64_e64 v[45:46], v[41:42], -v[14:15]
	v_fma_f64 v[2:3], v[2:3], 2.0, -v[4:5]
	v_fma_f64 v[47:48], v[47:48], 2.0, -v[30:31]
	;; [unrolled: 1-line block ×3, first 2 shown]
	v_lshlrev_b32_e32 v34, 1, v51
	v_lshlrev_b32_e32 v51, 1, v53
	v_fma_f64 v[18:19], v[18:19], 2.0, -v[20:21]
	v_fma_f64 v[14:15], v[64:65], 2.0, -v[6:7]
	;; [unrolled: 1-line block ×3, first 2 shown]
	v_and_or_b32 v34, 0xf8, v34, v85
	v_and_or_b32 v51, 0xf8, v51, v85
	v_fma_f64 v[54:55], v[54:55], 2.0, -v[8:9]
	v_fma_f64 v[43:44], v[43:44], 2.0, -v[12:13]
	v_and_or_b32 v53, 0xf8, v56, v85
	v_lshlrev_b32_e32 v63, 7, v34
	v_lshlrev_b32_e32 v64, 7, v51
	v_fma_f64 v[51:52], v[16:17], 2.0, -v[24:25]
	v_fma_f64 v[34:35], v[35:36], 2.0, -v[26:27]
	v_and_or_b32 v56, 0xf8, v60, v85
	v_and_or_b32 v60, 0xf8, v61, v85
	v_lshlrev_b32_e32 v53, 7, v53
	v_fma_f64 v[39:40], v[39:40], 2.0, -v[28:29]
	v_fma_f64 v[41:42], v[41:42], 2.0, -v[45:46]
	v_lshlrev_b32_e32 v56, 7, v56
	v_lshlrev_b32_e32 v60, 7, v60
	;; [unrolled: 1-line block ×3, first 2 shown]
	v_add3_u32 v36, 0, v62, v1
	v_add3_u32 v62, 0, v53, v1
	;; [unrolled: 1-line block ×6, first 2 shown]
	ds_store_2addr_stride64_b64 v36, v[2:3], v[4:5] offset1:1
	ds_store_2addr_stride64_b64 v62, v[14:15], v[6:7] offset1:1
	;; [unrolled: 1-line block ×6, first 2 shown]
	global_wb scope:SCOPE_SE
	s_wait_dscnt 0x0
	s_barrier_signal -1
	s_barrier_wait -1
	global_inv scope:SCOPE_SE
	ds_load_2addr_stride64_b64 v[2:5], v69 offset1:10
	ds_load_2addr_stride64_b64 v[6:9], v69 offset0:16 offset1:18
	ds_load_b64 v[43:44], v72
	ds_load_b64 v[47:48], v71
	ds_load_2addr_stride64_b64 v[10:13], v69 offset0:12 offset1:14
	ds_load_2addr_stride64_b64 v[14:17], v69 offset0:20 offset1:22
	ds_load_b64 v[53:54], v86
	ds_load_b64 v[55:56], v70
	global_wb scope:SCOPE_SE
	s_wait_dscnt 0x0
	s_barrier_signal -1
	s_barrier_wait -1
	global_inv scope:SCOPE_SE
	ds_store_2addr_stride64_b64 v36, v[18:19], v[20:21] offset1:1
	ds_store_2addr_stride64_b64 v62, v[37:38], v[22:23] offset1:1
	;; [unrolled: 1-line block ×6, first 2 shown]
	global_wb scope:SCOPE_SE
	s_wait_dscnt 0x0
	s_barrier_signal -1
	s_barrier_wait -1
	global_inv scope:SCOPE_SE
	s_clause 0x1
	global_load_b128 v[18:21], v61, s[8:9] offset:80
	global_load_b128 v[22:25], v61, s[8:9] offset:64
	ds_load_2addr_stride64_b64 v[26:29], v69 offset0:16 offset1:18
	ds_load_b64 v[45:46], v86
	ds_load_2addr_stride64_b64 v[30:33], v69 offset1:10
	ds_load_2addr_stride64_b64 v[34:37], v69 offset0:12 offset1:14
	ds_load_2addr_stride64_b64 v[38:41], v69 offset0:20 offset1:22
	ds_load_b64 v[60:61], v70
	s_wait_loadcnt_dscnt 0x105
	v_mul_f64_e32 v[51:52], v[26:27], v[20:21]
	s_wait_loadcnt_dscnt 0x4
	v_mul_f64_e32 v[62:63], v[45:46], v[24:25]
	v_mul_f64_e32 v[64:65], v[28:29], v[20:21]
	s_wait_dscnt 0x3
	v_mul_f64_e32 v[66:67], v[32:33], v[24:25]
	s_wait_dscnt 0x2
	;; [unrolled: 2-line block ×3, first 2 shown]
	v_mul_f64_e32 v[75:76], v[38:39], v[20:21]
	v_mul_f64_e32 v[77:78], v[36:37], v[24:25]
	;; [unrolled: 1-line block ×11, first 2 shown]
	v_fma_f64 v[6:7], v[6:7], v[18:19], v[51:52]
	v_fma_f64 v[51:52], v[53:54], v[22:23], v[62:63]
	;; [unrolled: 1-line block ×4, first 2 shown]
	ds_load_b64 v[66:67], v71
	v_fma_f64 v[10:11], v[10:11], v[22:23], v[73:74]
	v_fma_f64 v[14:15], v[14:15], v[18:19], v[75:76]
	;; [unrolled: 1-line block ×4, first 2 shown]
	v_fma_f64 v[45:46], v[45:46], v[22:23], -v[81:82]
	v_fma_f64 v[26:27], v[26:27], v[18:19], -v[83:84]
	v_fma_f64 v[32:33], v[32:33], v[22:23], -v[85:86]
	v_fma_f64 v[28:29], v[28:29], v[18:19], -v[87:88]
	v_fma_f64 v[34:35], v[34:35], v[22:23], -v[89:90]
	v_fma_f64 v[38:39], v[38:39], v[18:19], -v[91:92]
	v_fma_f64 v[22:23], v[36:37], v[22:23], -v[24:25]
	v_fma_f64 v[18:19], v[40:41], v[18:19], -v[20:21]
	ds_load_b64 v[62:63], v72
	v_mul_u32_u24_e32 v89, 24, v50
	global_wb scope:SCOPE_SE
	s_wait_dscnt 0x0
	s_barrier_signal -1
	s_barrier_wait -1
	global_inv scope:SCOPE_SE
	v_add_f64_e32 v[20:21], v[51:52], v[6:7]
	v_add_f64_e32 v[75:76], v[2:3], v[51:52]
	;; [unrolled: 1-line block ×8, first 2 shown]
	v_add_f64_e64 v[50:51], v[51:52], -v[6:7]
	v_add_f64_e32 v[53:54], v[45:46], v[26:27]
	v_add_f64_e64 v[79:80], v[45:46], -v[26:27]
	v_add_f64_e32 v[64:65], v[32:33], v[28:29]
	;; [unrolled: 2-line block ×4, first 2 shown]
	v_add_f64_e64 v[12:13], v[12:13], -v[16:17]
	v_fma_f64 v[2:3], v[20:21], -0.5, v[2:3]
	v_add_f64_e64 v[20:21], v[32:33], -v[28:29]
	v_fma_f64 v[24:25], v[24:25], -0.5, v[43:44]
	v_add_f64_e64 v[42:43], v[34:35], -v[38:39]
	v_lshrrev_b32_e32 v44, 7, v0
	v_fma_f64 v[36:37], v[36:37], -0.5, v[47:48]
	v_add_f64_e64 v[47:48], v[22:23], -v[18:19]
	v_fma_f64 v[40:41], v[40:41], -0.5, v[55:56]
	v_lshrrev_b32_e32 v55, 3, v58
	v_mul_u32_u24_e32 v87, 24, v44
	v_add_f64_e32 v[44:45], v[30:31], v[45:46]
	v_add_f64_e32 v[22:23], v[60:61], v[22:23]
	v_fma_f64 v[30:31], v[53:54], -0.5, v[30:31]
	v_add_f64_e32 v[32:33], v[62:63], v[32:33]
	v_add_f64_e32 v[34:35], v[66:67], v[34:35]
	v_fma_f64 v[52:53], v[64:65], -0.5, v[62:63]
	v_mul_u32_u24_e32 v88, 24, v55
	v_fma_f64 v[54:55], v[73:74], -0.5, v[66:67]
	v_fma_f64 v[60:61], v[77:78], -0.5, v[60:61]
	v_add_f64_e32 v[6:7], v[75:76], v[6:7]
	v_add_f64_e32 v[8:9], v[81:82], v[8:9]
	;; [unrolled: 1-line block ×4, first 2 shown]
	v_lshrrev_b32_e32 v56, 3, v68
	v_or_b32_e32 v46, v87, v93
	s_delay_alu instid0(VALU_DEP_2) | instskip(NEXT) | instid1(VALU_DEP_2)
	v_mul_u32_u24_e32 v56, 24, v56
	v_lshlrev_b32_e32 v46, 7, v46
	s_delay_alu instid0(VALU_DEP_1)
	v_add3_u32 v73, 0, v46, v1
	v_fma_f64 v[62:63], v[79:80], s[10:11], v[2:3]
	s_wait_alu 0xfffe
	v_fma_f64 v[2:3], v[79:80], s[12:13], v[2:3]
	v_fma_f64 v[64:65], v[20:21], s[10:11], v[24:25]
	;; [unrolled: 1-line block ×7, first 2 shown]
	v_or_b32_e32 v47, v88, v93
	v_add_f64_e32 v[26:27], v[44:45], v[26:27]
	v_add_f64_e32 v[18:19], v[22:23], v[18:19]
	v_fma_f64 v[22:23], v[50:51], s[12:13], v[30:31]
	v_or_b32_e32 v48, v56, v93
	v_lshlrev_b32_e32 v47, 7, v47
	v_fma_f64 v[30:31], v[50:51], s[10:11], v[30:31]
	v_or_b32_e32 v56, v89, v93
	v_add_f64_e32 v[28:29], v[32:33], v[28:29]
	v_add_f64_e32 v[32:33], v[34:35], v[38:39]
	v_fma_f64 v[34:35], v[4:5], s[12:13], v[52:53]
	v_fma_f64 v[38:39], v[4:5], s[10:11], v[52:53]
	;; [unrolled: 1-line block ×3, first 2 shown]
	v_add3_u32 v74, 0, v47, v1
	v_fma_f64 v[46:47], v[10:11], s[10:11], v[54:55]
	v_lshlrev_b32_e32 v48, 7, v48
	v_fma_f64 v[50:51], v[12:13], s[12:13], v[60:61]
	v_lshlrev_b32_e32 v56, 7, v56
	v_fma_f64 v[52:53], v[12:13], s[10:11], v[60:61]
	s_delay_alu instid0(VALU_DEP_4) | instskip(NEXT) | instid1(VALU_DEP_3)
	v_add3_u32 v48, 0, v48, v1
	v_add3_u32 v56, 0, v56, v1
	ds_store_2addr_stride64_b64 v73, v[6:7], v[62:63] offset1:2
	ds_store_b64 v73, v[2:3] offset:2048
	ds_store_2addr_stride64_b64 v74, v[8:9], v[64:65] offset1:2
	ds_store_b64 v74, v[20:21] offset:2048
	;; [unrolled: 2-line block ×4, first 2 shown]
	global_wb scope:SCOPE_SE
	s_wait_dscnt 0x0
	s_barrier_signal -1
	s_barrier_wait -1
	global_inv scope:SCOPE_SE
	ds_load_2addr_stride64_b64 v[1:4], v69 offset1:8
	ds_load_2addr_stride64_b64 v[9:12], v69 offset0:10 offset1:12
	ds_load_2addr_stride64_b64 v[5:8], v69 offset0:18 offset1:20
	;; [unrolled: 1-line block ×3, first 2 shown]
	ds_load_b64 v[64:65], v70
	ds_load_b64 v[60:61], v71
	;; [unrolled: 1-line block ×3, first 2 shown]
	ds_load_b64 v[66:67], v69 offset:11264
	global_wb scope:SCOPE_SE
	s_wait_dscnt 0x0
	s_barrier_signal -1
	s_barrier_wait -1
	global_inv scope:SCOPE_SE
	ds_store_2addr_stride64_b64 v73, v[26:27], v[22:23] offset1:2
	ds_store_b64 v73, v[30:31] offset:2048
	ds_store_2addr_stride64_b64 v74, v[28:29], v[34:35] offset1:2
	ds_store_b64 v74, v[38:39] offset:2048
	;; [unrolled: 2-line block ×4, first 2 shown]
	global_wb scope:SCOPE_SE
	s_wait_dscnt 0x0
	s_barrier_signal -1
	s_barrier_wait -1
	global_inv scope:SCOPE_SE
	s_and_saveexec_b32 s7, s5
	s_cbranch_execz .LBB0_32
; %bb.31:
	v_and_b32_e32 v17, 0xff, v68
	v_and_b32_e32 v18, 0xff, v58
	s_load_b64 s[0:1], s[0:1], 0x8
	v_and_b32_e32 v0, 0xffff, v0
	s_delay_alu instid0(VALU_DEP_3) | instskip(NEXT) | instid1(VALU_DEP_2)
	v_mul_lo_u16 v17, 0xab, v17
	v_mul_u32_u24_e32 v0, 0xaaab, v0
	s_delay_alu instid0(VALU_DEP_2) | instskip(SKIP_1) | instid1(VALU_DEP_3)
	v_lshrrev_b16 v73, 12, v17
	v_mul_lo_u16 v17, 0xab, v18
	v_lshrrev_b32_e32 v0, 24, v0
	s_delay_alu instid0(VALU_DEP_3) | instskip(NEXT) | instid1(VALU_DEP_3)
	v_mul_lo_u16 v18, v73, 24
	v_lshrrev_b16 v74, 12, v17
	s_delay_alu instid0(VALU_DEP_2) | instskip(NEXT) | instid1(VALU_DEP_2)
	v_sub_nc_u16 v17, v68, v18
	v_mul_lo_u16 v18, v74, 24
	s_delay_alu instid0(VALU_DEP_2) | instskip(NEXT) | instid1(VALU_DEP_2)
	v_and_b32_e32 v80, 0xff, v17
	v_sub_nc_u16 v17, v58, v18
	s_delay_alu instid0(VALU_DEP_2) | instskip(NEXT) | instid1(VALU_DEP_2)
	v_mul_u32_u24_e32 v18, 3, v80
	v_and_b32_e32 v77, 0xff, v17
	v_mul_lo_u32 v79, v59, v80
	v_add_nc_u32_e32 v92, 0x48, v80
	v_add_nc_u32_e32 v104, 48, v80
	v_lshlrev_b32_e32 v76, 4, v18
	v_mul_u32_u24_e32 v17, 3, v77
	v_and_b32_e32 v18, 0xff, v49
	v_mul_lo_u32 v78, v59, v77
	v_mul_lo_u32 v148, v59, v92
	s_clause 0x1
	global_load_b128 v[33:36], v76, s[8:9] offset:336
	global_load_b128 v[37:40], v76, s[8:9] offset:320
	v_lshlrev_b32_e32 v81, 4, v17
	v_mul_lo_u16 v17, 0xab, v18
	v_and_b32_e32 v41, 0xff, v79
	v_lshrrev_b32_e32 v42, 4, v79
	v_lshrrev_b32_e32 v50, 4, v78
	global_load_b128 v[25:28], v81, s[8:9] offset:336
	v_lshrrev_b16 v17, 12, v17
	v_lshlrev_b32_e32 v41, 4, v41
	v_and_b32_e32 v45, 0xff0, v42
	v_and_b32_e32 v53, 0xff0, v50
	;; [unrolled: 1-line block ×3, first 2 shown]
	v_mul_lo_u16 v17, v17, 24
	v_lshrrev_b32_e32 v93, 4, v148
	v_mul_lo_u32 v149, v59, v104
	v_add_nc_u32_e32 v80, 24, v80
	v_lshlrev_b32_e32 v92, 4, v92
	v_sub_nc_u16 v17, v49, v17
	v_and_b32_e32 v49, 0xff, v78
	v_and_b32_e32 v96, 0xff0, v93
	v_mul_lo_u32 v152, v59, v80
	s_delay_alu instid0(VALU_DEP_4) | instskip(NEXT) | instid1(VALU_DEP_4)
	v_and_b32_e32 v75, 0xff, v17
	v_lshlrev_b32_e32 v49, 4, v49
	v_and_b32_e32 v104, 0xff, v149
	v_lshrrev_b32_e32 v105, 4, v149
	s_delay_alu instid0(VALU_DEP_4) | instskip(SKIP_1) | instid1(VALU_DEP_4)
	v_mul_u32_u24_e32 v17, 3, v75
	v_mul_lo_u32 v83, v59, v75
	v_lshlrev_b32_e32 v108, 4, v104
	s_delay_alu instid0(VALU_DEP_4)
	v_and_b32_e32 v112, 0xff0, v105
	v_and_b32_e32 v128, 0xff, v152
	v_lshlrev_b32_e32 v82, 4, v17
	s_clause 0x2
	global_load_b128 v[29:32], v82, s[8:9] offset:336
	global_load_b128 v[21:24], v81, s[8:9] offset:352
	;; [unrolled: 1-line block ×3, first 2 shown]
	s_wait_kmcnt 0x0
	s_clause 0x3
	global_load_b128 v[41:44], v41, s[0:1]
	global_load_b128 v[45:48], v45, s[0:1] offset:4096
	global_load_b128 v[49:52], v49, s[0:1]
	global_load_b128 v[53:56], v53, s[0:1] offset:4096
	v_and_b32_e32 v84, 0xff, v83
	v_lshrrev_b32_e32 v85, 4, v83
	v_lshlrev_b32_e32 v132, 4, v128
	s_delay_alu instid0(VALU_DEP_3) | instskip(NEXT) | instid1(VALU_DEP_3)
	v_lshlrev_b32_e32 v84, 4, v84
	v_and_b32_e32 v88, 0xff0, v85
	s_clause 0x3
	global_load_b128 v[84:87], v84, s[0:1]
	global_load_b128 v[88:91], v88, s[0:1] offset:4096
	global_load_b128 v[92:95], v92, s[0:1]
	global_load_b128 v[96:99], v96, s[0:1] offset:4096
	ds_load_2addr_stride64_b64 v[100:103], v69 offset0:14 offset1:16
	global_load_b128 v[104:107], v81, s[8:9] offset:320
	s_clause 0x1
	global_load_b128 v[108:111], v108, s[0:1]
	global_load_b128 v[112:115], v112, s[0:1] offset:4096
	ds_load_2addr_stride64_b64 v[116:119], v69 offset0:10 offset1:12
	global_load_b128 v[120:123], v82, s[8:9] offset:320
	v_lshrrev_b32_e32 v82, 4, v152
	s_wait_loadcnt 0x11
	v_mul_f64_e32 v[124:125], v[15:16], v[35:36]
	s_wait_dscnt 0x1
	v_mul_f64_e32 v[35:36], v[102:103], v[35:36]
	s_wait_loadcnt_dscnt 0x1000
	v_mul_f64_e32 v[80:81], v[116:117], v[39:40]
	v_mul_f64_e32 v[39:40], v[9:10], v[39:40]
	s_wait_loadcnt 0xf
	v_mul_f64_e32 v[126:127], v[13:14], v[27:28]
	v_mul_f64_e32 v[27:28], v[100:101], v[27:28]
	s_wait_loadcnt 0xe
	v_mul_f64_e32 v[130:131], v[11:12], v[31:32]
	v_mul_f64_e32 v[31:32], v[118:119], v[31:32]
	v_fma_f64 v[124:125], v[102:103], v[33:34], -v[124:125]
	v_fma_f64 v[128:129], v[15:16], v[33:34], v[35:36]
	v_and_b32_e32 v15, 0xff0, v82
	v_fma_f64 v[126:127], v[100:101], v[25:26], -v[126:127]
	s_clause 0x1
	global_load_b128 v[33:36], v132, s[0:1]
	global_load_b128 v[100:103], v15, s[0:1] offset:4096
	v_fma_f64 v[132:133], v[13:14], v[25:26], v[27:28]
	ds_load_2addr_stride64_b64 v[13:16], v69 offset0:18 offset1:20
	v_add_nc_u32_e32 v25, 0x48, v77
	v_fma_f64 v[27:28], v[116:117], v[37:38], -v[39:40]
	s_delay_alu instid0(VALU_DEP_2) | instskip(SKIP_3) | instid1(VALU_DEP_3)
	v_mul_lo_u32 v82, v59, v25
	v_fma_f64 v[25:26], v[9:10], v[37:38], v[80:81]
	s_wait_loadcnt 0xe
	v_mul_f64_e32 v[80:81], v[5:6], v[19:20]
	v_and_b32_e32 v9, 0xff, v82
	v_lshrrev_b32_e32 v10, 4, v82
	s_delay_alu instid0(VALU_DEP_2)
	v_lshlrev_b32_e32 v9, 4, v9
	s_wait_dscnt 0x0
	v_mul_f64_e32 v[37:38], v[15:16], v[23:24]
	v_mul_f64_e32 v[23:24], v[7:8], v[23:24]
	;; [unrolled: 1-line block ×3, first 2 shown]
	v_add_nc_u32_e32 v19, 48, v77
	v_fma_f64 v[116:117], v[118:119], v[29:30], -v[130:131]
	v_and_b32_e32 v130, 0xff0, v10
	v_fma_f64 v[118:119], v[11:12], v[29:30], v[31:32]
	global_load_b128 v[9:12], v9, s[0:1]
	v_mul_lo_u32 v153, v59, v19
	global_load_b128 v[29:32], v130, s[0:1] offset:4096
	v_fma_f64 v[138:139], v[13:14], v[17:18], -v[80:81]
	s_wait_loadcnt 0xe
	v_mul_f64_e32 v[13:14], v[43:44], v[47:48]
	s_wait_loadcnt 0x5
	v_mul_f64_e32 v[80:81], v[110:111], v[114:115]
	v_fma_f64 v[130:131], v[7:8], v[21:22], v[37:38]
	v_and_b32_e32 v7, 0xff, v153
	v_lshrrev_b32_e32 v8, 4, v153
	v_fma_f64 v[134:135], v[15:16], v[21:22], -v[23:24]
	v_fma_f64 v[136:137], v[5:6], v[17:18], v[39:40]
	v_add_nc_u32_e32 v17, 24, v77
	v_lshlrev_b32_e32 v7, 4, v7
	v_and_b32_e32 v15, 0xff0, v8
	s_clause 0x1
	global_load_b128 v[5:8], v7, s[0:1]
	global_load_b128 v[19:22], v15, s[0:1] offset:4096
	v_mul_f64_e32 v[15:16], v[41:42], v[47:48]
	v_mul_lo_u32 v77, v59, v17
	v_mul_f64_e32 v[23:24], v[49:50], v[55:56]
	s_delay_alu instid0(VALU_DEP_2) | instskip(SKIP_1) | instid1(VALU_DEP_2)
	v_and_b32_e32 v17, 0xff, v77
	v_lshrrev_b32_e32 v18, 4, v77
	v_lshlrev_b32_e32 v17, 4, v17
	s_delay_alu instid0(VALU_DEP_2) | instskip(SKIP_3) | instid1(VALU_DEP_2)
	v_and_b32_e32 v18, 0xff0, v18
	v_fma_f64 v[140:141], v[41:42], v[45:46], -v[13:14]
	v_lshrrev_b32_e32 v41, 12, v148
	v_lshrrev_b32_e32 v42, 12, v149
	v_and_b32_e32 v41, 0xff0, v41
	v_fma_f64 v[142:143], v[43:44], v[45:46], v[15:16]
	s_clause 0x1
	global_load_b128 v[13:16], v17, s[0:1]
	global_load_b128 v[37:40], v18, s[0:1] offset:4096
	v_mul_f64_e32 v[17:18], v[51:52], v[55:56]
	v_fma_f64 v[146:147], v[51:52], v[53:54], v[23:24]
	v_mul_f64_e32 v[23:24], v[84:85], v[90:91]
	v_and_b32_e32 v45, 0xff0, v42
	s_clause 0x1
	global_load_b128 v[41:44], v41, s[0:1] offset:8192
	global_load_b128 v[45:48], v45, s[0:1] offset:8192
	v_fma_f64 v[144:145], v[49:50], v[53:54], -v[17:18]
	v_mul_f64_e32 v[17:18], v[86:87], v[90:91]
	v_fma_f64 v[150:151], v[88:89], v[86:87], v[23:24]
	v_mul_f64_e32 v[23:24], v[92:93], v[98:99]
	s_delay_alu instid0(VALU_DEP_3) | instskip(SKIP_1) | instid1(VALU_DEP_1)
	v_fma_f64 v[148:149], v[84:85], v[88:89], -v[17:18]
	v_mul_f64_e32 v[17:18], v[94:95], v[98:99]
	v_fma_f64 v[98:99], v[92:93], v[96:97], -v[17:18]
	v_mul_f64_e32 v[17:18], v[108:109], v[114:115]
	v_fma_f64 v[96:97], v[94:95], v[96:97], v[23:24]
	v_lshrrev_b32_e32 v23, 12, v79
	v_lshrrev_b32_e32 v24, 12, v152
	v_fma_f64 v[108:109], v[108:109], v[112:113], -v[80:81]
	v_lshrrev_b32_e32 v80, 12, v153
	v_lshrrev_b32_e32 v79, 12, v82
	v_and_b32_e32 v23, 0xff0, v23
	v_and_b32_e32 v24, 0xff0, v24
	s_clause 0x1
	global_load_b128 v[49:52], v23, s[0:1] offset:8192
	global_load_b128 v[53:56], v24, s[0:1] offset:8192
	v_and_b32_e32 v79, 0xff0, v79
	v_and_b32_e32 v84, 0xff0, v80
	s_clause 0x1
	global_load_b128 v[79:82], v79, s[0:1] offset:8192
	global_load_b128 v[84:87], v84, s[0:1] offset:8192
	v_fma_f64 v[110:111], v[110:111], v[112:113], v[17:18]
	s_wait_loadcnt 0xc
	v_mul_f64_e32 v[17:18], v[35:36], v[102:103]
	v_mul_f64_e32 v[23:24], v[33:34], v[102:103]
	s_delay_alu instid0(VALU_DEP_2) | instskip(SKIP_2) | instid1(VALU_DEP_3)
	v_fma_f64 v[102:103], v[33:34], v[100:101], -v[17:18]
	s_wait_loadcnt 0xa
	v_mul_f64_e32 v[17:18], v[11:12], v[31:32]
	v_fma_f64 v[100:101], v[35:36], v[100:101], v[23:24]
	v_mul_f64_e32 v[23:24], v[9:10], v[31:32]
	s_wait_loadcnt 0x8
	v_mul_f64_e32 v[31:32], v[7:8], v[21:22]
	s_delay_alu instid0(VALU_DEP_4) | instskip(SKIP_1) | instid1(VALU_DEP_4)
	v_fma_f64 v[112:113], v[9:10], v[29:30], -v[17:18]
	v_mul_f64_e32 v[9:10], v[5:6], v[21:22]
	v_fma_f64 v[114:115], v[11:12], v[29:30], v[23:24]
	v_lshrrev_b32_e32 v11, 12, v78
	v_lshrrev_b32_e32 v12, 12, v77
	s_delay_alu instid0(VALU_DEP_2) | instskip(NEXT) | instid1(VALU_DEP_2)
	v_and_b32_e32 v11, 0xff0, v11
	v_and_b32_e32 v12, 0xff0, v12
	s_clause 0x1
	global_load_b128 v[21:24], v11, s[0:1] offset:8192
	global_load_b128 v[88:91], v12, s[0:1] offset:8192
	v_fma_f64 v[77:78], v[5:6], v[19:20], -v[31:32]
	s_wait_loadcnt 0x8
	v_mul_f64_e32 v[5:6], v[15:16], v[39:40]
	v_fma_f64 v[152:153], v[7:8], v[19:20], v[9:10]
	v_mul_f64_e32 v[7:8], v[13:14], v[39:40]
	v_add_nc_u32_e32 v9, 0x48, v75
	s_delay_alu instid0(VALU_DEP_1) | instskip(NEXT) | instid1(VALU_DEP_1)
	v_mul_lo_u32 v9, v59, v9
	v_lshrrev_b32_e32 v10, 4, v9
	v_and_b32_e32 v11, 0xff, v9
	s_delay_alu instid0(VALU_DEP_2) | instskip(NEXT) | instid1(VALU_DEP_2)
	v_and_b32_e32 v10, 0xff0, v10
	v_lshlrev_b32_e32 v11, 4, v11
	v_fma_f64 v[154:155], v[13:14], v[37:38], -v[5:6]
	v_add_nc_u32_e32 v5, 48, v75
	v_fma_f64 v[156:157], v[15:16], v[37:38], v[7:8]
	s_clause 0x1
	global_load_b128 v[13:16], v10, s[0:1] offset:4096
	global_load_b128 v[17:20], v11, s[0:1]
	v_mul_lo_u32 v31, v59, v5
	v_lshrrev_b32_e32 v5, 12, v9
	s_delay_alu instid0(VALU_DEP_1) | instskip(NEXT) | instid1(VALU_DEP_3)
	v_and_b32_e32 v5, 0xff0, v5
	v_lshrrev_b32_e32 v6, 12, v31
	s_delay_alu instid0(VALU_DEP_1)
	v_and_b32_e32 v9, 0xff0, v6
	s_clause 0x1
	global_load_b128 v[5:8], v5, s[0:1] offset:8192
	global_load_b128 v[9:12], v9, s[0:1] offset:8192
	s_wait_loadcnt 0x2
	v_mul_f64_e32 v[29:30], v[19:20], v[15:16]
	v_mul_f64_e32 v[15:16], v[17:18], v[15:16]
	s_delay_alu instid0(VALU_DEP_2) | instskip(NEXT) | instid1(VALU_DEP_2)
	v_fma_f64 v[29:30], v[17:18], v[13:14], -v[29:30]
	v_fma_f64 v[158:159], v[19:20], v[13:14], v[15:16]
	v_and_b32_e32 v13, 0xff, v31
	v_lshrrev_b32_e32 v14, 4, v31
	s_delay_alu instid0(VALU_DEP_2) | instskip(NEXT) | instid1(VALU_DEP_2)
	v_lshlrev_b32_e32 v13, 4, v13
	v_and_b32_e32 v17, 0xff0, v14
	s_clause 0x1
	global_load_b128 v[13:16], v13, s[0:1]
	global_load_b128 v[17:20], v17, s[0:1] offset:4096
	s_wait_loadcnt 0x0
	v_mul_f64_e32 v[31:32], v[15:16], v[19:20]
	s_delay_alu instid0(VALU_DEP_1) | instskip(SKIP_1) | instid1(VALU_DEP_1)
	v_fma_f64 v[33:34], v[13:14], v[17:18], -v[31:32]
	v_mul_f64_e32 v[13:14], v[13:14], v[19:20]
	v_fma_f64 v[160:161], v[15:16], v[17:18], v[13:14]
	v_add_nc_u32_e32 v13, 24, v75
	v_lshrrev_b32_e32 v14, 12, v83
	v_and_b32_e32 v83, 0xffff, v73
	s_delay_alu instid0(VALU_DEP_3) | instskip(NEXT) | instid1(VALU_DEP_3)
	v_mul_lo_u32 v13, v59, v13
	v_and_b32_e32 v14, 0xff0, v14
	v_and_b32_e32 v59, 0xffff, v74
	s_delay_alu instid0(VALU_DEP_4) | instskip(SKIP_1) | instid1(VALU_DEP_3)
	v_mad_u32_u24 v68, 0x48, v83, v68
	v_mul_f64_e32 v[73:74], v[152:153], v[86:87]
	v_mad_u32_u24 v59, 0x48, v59, v58
	v_and_b32_e32 v15, 0xff, v13
	v_lshrrev_b32_e32 v16, 4, v13
	v_lshrrev_b32_e32 v13, 12, v13
	s_delay_alu instid0(VALU_DEP_4) | instskip(NEXT) | instid1(VALU_DEP_4)
	v_add_nc_u32_e32 v83, 24, v59
	v_lshlrev_b32_e32 v15, 4, v15
	s_delay_alu instid0(VALU_DEP_4) | instskip(NEXT) | instid1(VALU_DEP_4)
	v_and_b32_e32 v16, 0xff0, v16
	v_and_b32_e32 v13, 0xff0, v13
	s_clause 0x3
	global_load_b128 v[17:20], v15, s[0:1]
	global_load_b128 v[37:40], v16, s[0:1] offset:4096
	global_load_b128 v[92:95], v14, s[0:1] offset:8192
	;; [unrolled: 1-line block ×3, first 2 shown]
	v_fma_f64 v[73:74], v[84:85], v[77:78], -v[73:74]
	s_wait_loadcnt 0x2
	v_mul_f64_e32 v[31:32], v[19:20], v[39:40]
	s_delay_alu instid0(VALU_DEP_1)
	v_fma_f64 v[35:36], v[17:18], v[37:38], -v[31:32]
	v_mul_f64_e32 v[17:18], v[17:18], v[39:40]
	ds_load_b64 v[164:165], v72
	ds_load_b64 v[71:72], v71
	ds_load_b64 v[31:32], v69 offset:11264
	v_fma_f64 v[162:163], v[19:20], v[37:38], v[17:18]
	global_load_b128 v[17:20], v76, s[8:9] offset:352
	v_mul_lo_u16 v76, 0x60, v0
	v_add_nc_u32_e32 v0, s6, v57
	v_mul_f64_e32 v[57:58], v[77:78], v[86:87]
	s_delay_alu instid0(VALU_DEP_3) | instskip(NEXT) | instid1(VALU_DEP_3)
	v_and_b32_e32 v76, 0xffff, v76
	v_mad_co_u64_u32 v[86:87], null, s4, v59, v[0:1]
	v_add_nc_u32_e32 v87, 48, v59
	s_delay_alu instid0(VALU_DEP_4) | instskip(SKIP_3) | instid1(VALU_DEP_2)
	v_fma_f64 v[57:58], v[84:85], v[152:153], v[57:58]
	s_wait_loadcnt_dscnt 0x0
	v_mul_f64_e32 v[37:38], v[31:32], v[19:20]
	v_mul_f64_e32 v[19:20], v[66:67], v[19:20]
	v_fma_f64 v[166:167], v[66:67], v[17:18], v[37:38]
	s_delay_alu instid0(VALU_DEP_2)
	v_fma_f64 v[66:67], v[31:32], v[17:18], -v[19:20]
	ds_load_b64 v[17:18], v70
	v_mul_f64_e32 v[37:38], v[108:109], v[47:48]
	s_wait_dscnt 0x0
	v_mul_f64_e32 v[19:20], v[17:18], v[122:123]
	v_add_f64_e64 v[66:67], v[27:28], -v[66:67]
	s_delay_alu instid0(VALU_DEP_2) | instskip(SKIP_2) | instid1(VALU_DEP_4)
	v_fma_f64 v[168:169], v[64:65], v[120:121], v[19:20]
	v_mul_f64_e32 v[19:20], v[64:65], v[122:123]
	v_add_nc_u32_e32 v122, 48, v68
	v_fma_f64 v[27:28], v[27:28], 2.0, -v[66:67]
	s_delay_alu instid0(VALU_DEP_3) | instskip(SKIP_3) | instid1(VALU_DEP_3)
	v_fma_f64 v[64:65], v[17:18], v[120:121], -v[19:20]
	v_mul_f64_e32 v[17:18], v[142:143], v[51:52]
	v_mul_f64_e32 v[19:20], v[140:141], v[51:52]
	v_add_nc_u32_e32 v121, 24, v68
	v_fma_f64 v[17:18], v[49:50], v[140:141], -v[17:18]
	s_delay_alu instid0(VALU_DEP_3) | instskip(SKIP_2) | instid1(VALU_DEP_2)
	v_fma_f64 v[49:50], v[49:50], v[142:143], v[19:20]
	v_mul_f64_e32 v[19:20], v[146:147], v[23:24]
	v_mul_f64_e32 v[23:24], v[144:145], v[23:24]
	v_fma_f64 v[19:20], v[21:22], v[144:145], -v[19:20]
	s_delay_alu instid0(VALU_DEP_2) | instskip(SKIP_1) | instid1(VALU_DEP_1)
	v_fma_f64 v[51:52], v[21:22], v[146:147], v[23:24]
	v_mul_f64_e32 v[21:22], v[94:95], v[150:151]
	v_fma_f64 v[23:24], v[92:93], v[148:149], -v[21:22]
	v_mul_f64_e32 v[21:22], v[94:95], v[148:149]
	v_add_f64_e64 v[94:95], v[168:169], -v[136:137]
	s_delay_alu instid0(VALU_DEP_2) | instskip(SKIP_1) | instid1(VALU_DEP_1)
	v_fma_f64 v[92:93], v[92:93], v[150:151], v[21:22]
	v_mul_f64_e32 v[21:22], v[96:97], v[43:44]
	v_fma_f64 v[31:32], v[41:42], v[98:99], -v[21:22]
	v_mul_f64_e32 v[21:22], v[98:99], v[43:44]
	v_fma_f64 v[43:44], v[45:46], v[110:111], v[37:38]
	ds_load_2addr_stride64_b64 v[37:40], v69 offset1:8
	v_add_f64_e64 v[98:99], v[164:165], -v[126:127]
	v_or_b32_e32 v126, v76, v75
	v_mad_co_u64_u32 v[75:76], null, s4, v83, v[0:1]
	s_delay_alu instid0(VALU_DEP_2)
	v_add_nc_u32_e32 v76, 0x48, v126
	s_wait_dscnt 0x0
	v_add_f64_e64 v[69:70], v[37:38], -v[116:117]
	v_fma_f64 v[41:42], v[41:42], v[96:97], v[21:22]
	v_mul_f64_e32 v[21:22], v[110:111], v[47:48]
	v_mul_f64_e32 v[47:48], v[39:40], v[106:107]
	v_add_f64_e64 v[96:97], v[64:65], -v[138:139]
	v_add_f64_e64 v[110:111], v[25:26], -v[166:167]
	v_fma_f64 v[37:38], v[37:38], 2.0, -v[69:70]
	v_fma_f64 v[21:22], v[45:46], v[108:109], -v[21:22]
	v_mul_f64_e32 v[45:46], v[3:4], v[106:107]
	v_add_f64_e64 v[106:107], v[71:72], -v[124:125]
	v_add_f64_e64 v[108:109], v[60:61], -v[128:129]
	v_fma_f64 v[64:65], v[64:65], 2.0, -v[96:97]
	v_fma_f64 v[25:26], v[25:26], 2.0, -v[110:111]
	v_fma_f64 v[39:40], v[39:40], v[104:105], -v[45:46]
	v_fma_f64 v[45:46], v[3:4], v[104:105], v[47:48]
	v_mul_f64_e32 v[3:4], v[100:101], v[55:56]
	v_mul_f64_e32 v[47:48], v[102:103], v[55:56]
	;; [unrolled: 1-line block ×3, first 2 shown]
	v_fma_f64 v[71:72], v[71:72], 2.0, -v[106:107]
	v_add_f64_e64 v[64:65], v[37:38], -v[64:65]
	v_add_f64_e32 v[66:67], v[108:109], v[66:67]
	v_add_f64_e64 v[104:105], v[39:40], -v[134:135]
	v_fma_f64 v[3:4], v[53:54], v[102:103], -v[3:4]
	v_fma_f64 v[47:48], v[53:54], v[100:101], v[47:48]
	v_mul_f64_e32 v[53:54], v[112:113], v[81:82]
	v_add_f64_e64 v[81:82], v[1:2], -v[118:119]
	v_add_f64_e64 v[100:101], v[62:63], -v[132:133]
	;; [unrolled: 1-line block ×3, first 2 shown]
	v_fma_f64 v[55:56], v[79:80], v[112:113], -v[55:56]
	v_mad_co_u64_u32 v[112:113], null, s4, v68, v[0:1]
	v_add_nc_u32_e32 v119, 0x48, v59
	v_fma_f64 v[59:60], v[60:61], 2.0, -v[108:109]
	v_add_nc_u32_e32 v68, 0x48, v68
	v_add_f64_e64 v[134:135], v[71:72], -v[27:28]
	v_add_nc_u32_e32 v61, 24, v126
	v_fma_f64 v[37:38], v[37:38], 2.0, -v[64:65]
	v_fma_f64 v[108:109], v[108:109], 2.0, -v[66:67]
	;; [unrolled: 1-line block ×3, first 2 shown]
	v_fma_f64 v[53:54], v[79:80], v[114:115], v[53:54]
	v_fma_f64 v[1:2], v[1:2], 2.0, -v[81:82]
	v_mul_f64_e32 v[79:80], v[156:157], v[90:91]
	v_mul_f64_e32 v[90:91], v[154:155], v[90:91]
	v_fma_f64 v[113:114], v[168:169], 2.0, -v[94:95]
	v_fma_f64 v[115:116], v[164:165], 2.0, -v[98:99]
	;; [unrolled: 1-line block ×4, first 2 shown]
	v_add_f64_e32 v[104:105], v[100:101], v[104:105]
	v_add_f64_e64 v[102:103], v[98:99], -v[102:103]
	v_add_f64_e32 v[96:97], v[81:82], v[96:97]
	v_add_f64_e64 v[94:95], v[69:70], -v[94:95]
	v_mul_f64_e32 v[146:147], v[108:109], v[47:48]
	v_mad_co_u64_u32 v[83:84], null, s4, v68, v[0:1]
	v_mul_f64_e32 v[84:85], v[29:30], v[7:8]
	v_fma_f64 v[79:80], v[88:89], v[154:155], -v[79:80]
	v_fma_f64 v[88:89], v[88:89], v[156:157], v[90:91]
	v_mul_f64_e32 v[90:91], v[35:36], v[15:16]
	v_add_f64_e64 v[128:129], v[1:2], -v[113:114]
	v_mad_co_u64_u32 v[77:78], null, s4, v121, v[0:1]
	v_mad_co_u64_u32 v[121:122], null, s4, v122, v[0:1]
	v_mul_f64_e32 v[122:123], v[33:34], v[11:12]
	v_add_f64_e64 v[45:46], v[62:63], -v[45:46]
	v_add_f64_e64 v[132:133], v[115:116], -v[39:40]
	;; [unrolled: 1-line block ×4, first 2 shown]
	v_add_nc_u32_e32 v68, 48, v126
	v_mad_co_u64_u32 v[117:118], null, s4, v87, v[0:1]
	v_mad_co_u64_u32 v[119:120], null, s4, v119, v[0:1]
	;; [unrolled: 1-line block ×6, first 2 shown]
	v_mul_f64_e32 v[7:8], v[158:159], v[7:8]
	v_mul_f64_e32 v[11:12], v[160:161], v[11:12]
	;; [unrolled: 1-line block ×3, first 2 shown]
	v_fma_f64 v[100:101], v[100:101], 2.0, -v[104:105]
	v_fma_f64 v[98:99], v[98:99], 2.0, -v[102:103]
	;; [unrolled: 1-line block ×4, first 2 shown]
	v_mul_f64_e32 v[138:139], v[104:105], v[53:54]
	v_mul_f64_e32 v[53:54], v[102:103], v[53:54]
	v_fma_f64 v[70:71], v[71:72], 2.0, -v[134:135]
	v_mov_b32_e32 v125, 0
	v_fma_f64 v[27:28], v[5:6], v[158:159], v[84:85]
	v_mul_f64_e32 v[154:155], v[134:135], v[43:44]
	v_fma_f64 v[90:91], v[13:14], v[162:163], v[90:91]
	v_fma_f64 v[0:1], v[1:2], 2.0, -v[128:129]
	v_dual_mov_b32 v26, v125 :: v_dual_mov_b32 v87, v125
	v_mov_b32_e32 v76, v125
	v_mov_b32_e32 v118, v125
	v_fma_f64 v[136:137], v[9:10], v[160:161], v[122:123]
	v_fma_f64 v[61:62], v[62:63], 2.0, -v[45:46]
	v_fma_f64 v[114:115], v[115:116], 2.0, -v[132:133]
	v_fma_f64 v[106:107], v[106:107], 2.0, -v[39:40]
	v_fma_f64 v[59:60], v[59:60], 2.0, -v[110:111]
	v_lshlrev_b64_e32 v[85:86], 4, v[86:87]
	v_lshlrev_b64_e32 v[140:141], 4, v[25:26]
	v_mul_f64_e32 v[148:149], v[45:46], v[57:58]
	v_mul_f64_e32 v[57:58], v[132:133], v[57:58]
	v_mul_f64_e32 v[144:145], v[110:111], v[43:44]
	v_lshlrev_b64_e32 v[123:124], 4, v[124:125]
	v_lshlrev_b64_e32 v[75:76], 4, v[75:76]
	v_mov_b32_e32 v120, v125
	v_lshlrev_b64_e32 v[116:117], 4, v[117:118]
	v_dual_mov_b32 v113, v125 :: v_dual_mov_b32 v78, v125
	v_add_co_u32 v123, vcc_lo, s2, v123
	v_fma_f64 v[25:26], v[5:6], v[29:30], -v[7:8]
	v_fma_f64 v[33:34], v[9:10], v[33:34], -v[11:12]
	;; [unrolled: 1-line block ×3, first 2 shown]
	v_mul_f64_e32 v[15:16], v[66:67], v[41:42]
	v_mul_f64_e32 v[35:36], v[100:101], v[88:89]
	s_wait_alu 0xfffd
	v_add_co_ci_u32_e32 v124, vcc_lo, s3, v124, vcc_lo
	v_fma_f64 v[7:8], v[102:103], v[55:56], -v[138:139]
	v_fma_f64 v[5:6], v[104:105], v[55:56], v[53:54]
	v_mul_f64_e32 v[152:153], v[70:71], v[49:50]
	v_add_co_u32 v85, vcc_lo, s2, v85
	v_mul_f64_e32 v[9:10], v[96:97], v[27:28]
	v_mul_f64_e32 v[13:14], v[94:95], v[27:28]
	;; [unrolled: 1-line block ×14, first 2 shown]
	s_wait_alu 0xfffd
	v_add_co_ci_u32_e32 v86, vcc_lo, s3, v86, vcc_lo
	v_fma_f64 v[51:52], v[132:133], v[73:74], -v[148:149]
	v_fma_f64 v[49:50], v[45:46], v[73:74], v[57:58]
	v_fma_f64 v[47:48], v[106:107], v[3:4], -v[146:147]
	v_lshlrev_b64_e32 v[118:119], 4, v[119:120]
	v_add_co_u32 v75, vcc_lo, s2, v75
	s_wait_alu 0xfffd
	v_add_co_ci_u32_e32 v76, vcc_lo, s3, v76, vcc_lo
	v_lshlrev_b64_e32 v[112:113], 4, v[112:113]
	v_add_co_u32 v116, vcc_lo, s2, v116
	v_mov_b32_e32 v122, v125
	s_wait_alu 0xfffd
	v_add_co_ci_u32_e32 v117, vcc_lo, s3, v117, vcc_lo
	v_fma_f64 v[15:16], v[39:40], v[31:32], -v[15:16]
	v_fma_f64 v[39:40], v[134:135], v[21:22], -v[144:145]
	v_lshlrev_b64_e32 v[77:78], 4, v[77:78]
	v_add_co_u32 v118, vcc_lo, s2, v118
	v_mov_b32_e32 v127, v125
	s_wait_alu 0xfffd
	v_add_co_ci_u32_e32 v119, vcc_lo, s3, v119, vcc_lo
	v_fma_f64 v[11:12], v[94:95], v[25:26], -v[9:10]
	v_fma_f64 v[9:10], v[96:97], v[25:26], v[13:14]
	v_fma_f64 v[13:14], v[66:67], v[31:32], v[27:28]
	;; [unrolled: 1-line block ×3, first 2 shown]
	v_fma_f64 v[31:32], v[68:69], v[29:30], -v[87:88]
	v_fma_f64 v[29:30], v[81:82], v[29:30], v[89:90]
	v_fma_f64 v[43:44], v[37:38], v[23:24], -v[150:151]
	v_fma_f64 v[41:42], v[0:1], v[23:24], v[91:92]
	v_fma_f64 v[27:28], v[98:99], v[79:80], -v[35:36]
	v_fma_f64 v[35:36], v[64:65], v[33:34], -v[142:143]
	v_fma_f64 v[33:34], v[128:129], v[33:34], v[136:137]
	v_fma_f64 v[55:56], v[114:115], v[19:20], -v[53:54]
	v_fma_f64 v[53:54], v[61:62], v[19:20], v[102:103]
	v_fma_f64 v[45:46], v[108:109], v[3:4], v[104:105]
	v_fma_f64 v[2:3], v[70:71], v[17:18], -v[138:139]
	v_fma_f64 v[0:1], v[59:60], v[17:18], v[152:153]
	v_fma_f64 v[37:38], v[110:111], v[21:22], v[154:155]
	v_lshlrev_b64_e32 v[120:121], 4, v[121:122]
	v_add_co_u32 v17, vcc_lo, s2, v112
	v_mov_b32_e32 v131, v125
	s_wait_alu 0xfffd
	v_add_co_ci_u32_e32 v18, vcc_lo, s3, v113, vcc_lo
	v_mov_b32_e32 v84, v125
	v_lshlrev_b64_e32 v[125:126], 4, v[126:127]
	v_add_co_u32 v19, vcc_lo, s2, v77
	s_wait_alu 0xfffd
	v_add_co_ci_u32_e32 v20, vcc_lo, s3, v78, vcc_lo
	v_lshlrev_b64_e32 v[130:131], 4, v[130:131]
	v_add_co_u32 v21, vcc_lo, s2, v120
	s_wait_alu 0xfffd
	v_add_co_ci_u32_e32 v22, vcc_lo, s3, v121, vcc_lo
	v_add_co_u32 v23, vcc_lo, s2, v125
	s_wait_alu 0xfffd
	v_add_co_ci_u32_e32 v24, vcc_lo, s3, v126, vcc_lo
	v_lshlrev_b64_e32 v[83:84], 4, v[83:84]
	v_add_co_u32 v57, vcc_lo, s2, v130
	s_wait_alu 0xfffd
	v_add_co_ci_u32_e32 v58, vcc_lo, s3, v131, vcc_lo
	v_add_co_u32 v59, vcc_lo, s2, v140
	s_wait_alu 0xfffd
	v_add_co_ci_u32_e32 v60, vcc_lo, s3, v141, vcc_lo
	;; [unrolled: 3-line block ×3, first 2 shown]
	s_clause 0xb
	global_store_b128 v[123:124], v[41:44], off
	global_store_b128 v[23:24], v[29:32], off
	global_store_b128 v[57:58], v[33:36], off
	global_store_b128 v[59:60], v[9:12], off
	global_store_b128 v[85:86], v[53:56], off
	global_store_b128 v[75:76], v[25:28], off
	global_store_b128 v[116:117], v[49:52], off
	global_store_b128 v[118:119], v[5:8], off
	global_store_b128 v[17:18], v[0:3], off
	global_store_b128 v[19:20], v[45:48], off
	global_store_b128 v[21:22], v[37:40], off
	global_store_b128 v[61:62], v[13:16], off
.LBB0_32:
	s_nop 0
	s_sendmsg sendmsg(MSG_DEALLOC_VGPRS)
	s_endpgm
	.section	.rodata,"a",@progbits
	.p2align	6, 0x0
	.amdhsa_kernel fft_rtc_back_len96_factors_4_2_3_4_wgs_128_tpt_8_halfLds_dim3_dp_ip_CI_sbcc_twdbase8_3step_dirReg_intrinsicReadWrite
		.amdhsa_group_segment_fixed_size 0
		.amdhsa_private_segment_fixed_size 0
		.amdhsa_kernarg_size 88
		.amdhsa_user_sgpr_count 2
		.amdhsa_user_sgpr_dispatch_ptr 0
		.amdhsa_user_sgpr_queue_ptr 0
		.amdhsa_user_sgpr_kernarg_segment_ptr 1
		.amdhsa_user_sgpr_dispatch_id 0
		.amdhsa_user_sgpr_private_segment_size 0
		.amdhsa_wavefront_size32 1
		.amdhsa_uses_dynamic_stack 0
		.amdhsa_enable_private_segment 0
		.amdhsa_system_sgpr_workgroup_id_x 1
		.amdhsa_system_sgpr_workgroup_id_y 0
		.amdhsa_system_sgpr_workgroup_id_z 0
		.amdhsa_system_sgpr_workgroup_info 0
		.amdhsa_system_vgpr_workitem_id 0
		.amdhsa_next_free_vgpr 170
		.amdhsa_next_free_sgpr 26
		.amdhsa_reserve_vcc 1
		.amdhsa_float_round_mode_32 0
		.amdhsa_float_round_mode_16_64 0
		.amdhsa_float_denorm_mode_32 3
		.amdhsa_float_denorm_mode_16_64 3
		.amdhsa_fp16_overflow 0
		.amdhsa_workgroup_processor_mode 1
		.amdhsa_memory_ordered 1
		.amdhsa_forward_progress 0
		.amdhsa_round_robin_scheduling 0
		.amdhsa_exception_fp_ieee_invalid_op 0
		.amdhsa_exception_fp_denorm_src 0
		.amdhsa_exception_fp_ieee_div_zero 0
		.amdhsa_exception_fp_ieee_overflow 0
		.amdhsa_exception_fp_ieee_underflow 0
		.amdhsa_exception_fp_ieee_inexact 0
		.amdhsa_exception_int_div_zero 0
	.end_amdhsa_kernel
	.text
.Lfunc_end0:
	.size	fft_rtc_back_len96_factors_4_2_3_4_wgs_128_tpt_8_halfLds_dim3_dp_ip_CI_sbcc_twdbase8_3step_dirReg_intrinsicReadWrite, .Lfunc_end0-fft_rtc_back_len96_factors_4_2_3_4_wgs_128_tpt_8_halfLds_dim3_dp_ip_CI_sbcc_twdbase8_3step_dirReg_intrinsicReadWrite
                                        ; -- End function
	.section	.AMDGPU.csdata,"",@progbits
; Kernel info:
; codeLenInByte = 8516
; NumSgprs: 28
; NumVgprs: 170
; ScratchSize: 0
; MemoryBound: 0
; FloatMode: 240
; IeeeMode: 1
; LDSByteSize: 0 bytes/workgroup (compile time only)
; SGPRBlocks: 3
; VGPRBlocks: 21
; NumSGPRsForWavesPerEU: 28
; NumVGPRsForWavesPerEU: 170
; Occupancy: 8
; WaveLimiterHint : 1
; COMPUTE_PGM_RSRC2:SCRATCH_EN: 0
; COMPUTE_PGM_RSRC2:USER_SGPR: 2
; COMPUTE_PGM_RSRC2:TRAP_HANDLER: 0
; COMPUTE_PGM_RSRC2:TGID_X_EN: 1
; COMPUTE_PGM_RSRC2:TGID_Y_EN: 0
; COMPUTE_PGM_RSRC2:TGID_Z_EN: 0
; COMPUTE_PGM_RSRC2:TIDIG_COMP_CNT: 0
	.text
	.p2alignl 7, 3214868480
	.fill 96, 4, 3214868480
	.type	__hip_cuid_7e6789f9e168004a,@object ; @__hip_cuid_7e6789f9e168004a
	.section	.bss,"aw",@nobits
	.globl	__hip_cuid_7e6789f9e168004a
__hip_cuid_7e6789f9e168004a:
	.byte	0                               ; 0x0
	.size	__hip_cuid_7e6789f9e168004a, 1

	.ident	"AMD clang version 19.0.0git (https://github.com/RadeonOpenCompute/llvm-project roc-6.4.0 25133 c7fe45cf4b819c5991fe208aaa96edf142730f1d)"
	.section	".note.GNU-stack","",@progbits
	.addrsig
	.addrsig_sym __hip_cuid_7e6789f9e168004a
	.amdgpu_metadata
---
amdhsa.kernels:
  - .args:
      - .actual_access:  read_only
        .address_space:  global
        .offset:         0
        .size:           8
        .value_kind:     global_buffer
      - .address_space:  global
        .offset:         8
        .size:           8
        .value_kind:     global_buffer
      - .actual_access:  read_only
        .address_space:  global
        .offset:         16
        .size:           8
        .value_kind:     global_buffer
      - .actual_access:  read_only
        .address_space:  global
        .offset:         24
        .size:           8
        .value_kind:     global_buffer
      - .offset:         32
        .size:           8
        .value_kind:     by_value
      - .actual_access:  read_only
        .address_space:  global
        .offset:         40
        .size:           8
        .value_kind:     global_buffer
      - .actual_access:  read_only
        .address_space:  global
        .offset:         48
        .size:           8
        .value_kind:     global_buffer
      - .offset:         56
        .size:           4
        .value_kind:     by_value
      - .actual_access:  read_only
        .address_space:  global
        .offset:         64
        .size:           8
        .value_kind:     global_buffer
      - .actual_access:  read_only
        .address_space:  global
        .offset:         72
        .size:           8
        .value_kind:     global_buffer
      - .address_space:  global
        .offset:         80
        .size:           8
        .value_kind:     global_buffer
    .group_segment_fixed_size: 0
    .kernarg_segment_align: 8
    .kernarg_segment_size: 88
    .language:       OpenCL C
    .language_version:
      - 2
      - 0
    .max_flat_workgroup_size: 128
    .name:           fft_rtc_back_len96_factors_4_2_3_4_wgs_128_tpt_8_halfLds_dim3_dp_ip_CI_sbcc_twdbase8_3step_dirReg_intrinsicReadWrite
    .private_segment_fixed_size: 0
    .sgpr_count:     28
    .sgpr_spill_count: 0
    .symbol:         fft_rtc_back_len96_factors_4_2_3_4_wgs_128_tpt_8_halfLds_dim3_dp_ip_CI_sbcc_twdbase8_3step_dirReg_intrinsicReadWrite.kd
    .uniform_work_group_size: 1
    .uses_dynamic_stack: false
    .vgpr_count:     170
    .vgpr_spill_count: 0
    .wavefront_size: 32
    .workgroup_processor_mode: 1
amdhsa.target:   amdgcn-amd-amdhsa--gfx1201
amdhsa.version:
  - 1
  - 2
...

	.end_amdgpu_metadata
